;; amdgpu-corpus repo=ROCm/rocFFT kind=compiled arch=gfx1100 opt=O3
	.text
	.amdgcn_target "amdgcn-amd-amdhsa--gfx1100"
	.amdhsa_code_object_version 6
	.protected	bluestein_single_fwd_len128_dim1_dp_op_CI_CI ; -- Begin function bluestein_single_fwd_len128_dim1_dp_op_CI_CI
	.globl	bluestein_single_fwd_len128_dim1_dp_op_CI_CI
	.p2align	8
	.type	bluestein_single_fwd_len128_dim1_dp_op_CI_CI,@function
bluestein_single_fwd_len128_dim1_dp_op_CI_CI: ; @bluestein_single_fwd_len128_dim1_dp_op_CI_CI
; %bb.0:
	s_load_b128 s[8:11], s[0:1], 0x28
	v_lshrrev_b32_e32 v1, 4, v0
	v_mov_b32_e32 v93, 0
	s_mov_b32 s2, exec_lo
	s_delay_alu instid0(VALU_DEP_2) | instskip(SKIP_1) | instid1(VALU_DEP_1)
	v_lshl_or_b32 v92, s15, 4, v1
	s_waitcnt lgkmcnt(0)
	v_cmpx_gt_u64_e64 s[8:9], v[92:93]
	s_cbranch_execz .LBB0_15
; %bb.1:
	s_clause 0x1
	s_load_b64 s[12:13], s[0:1], 0x0
	s_load_b64 s[8:9], s[0:1], 0x38
	v_and_b32_e32 v93, 15, v0
	v_lshlrev_b32_e32 v65, 7, v1
	s_delay_alu instid0(VALU_DEP_2) | instskip(SKIP_1) | instid1(VALU_DEP_3)
	v_cmp_gt_u32_e32 vcc_lo, 8, v93
	v_lshlrev_b32_e32 v103, 4, v93
	v_or_b32_e32 v64, v65, v93
	v_or_b32_e32 v94, 8, v93
	v_add_lshl_u32 v102, v65, v93, 4
	v_or_b32_e32 v95, 24, v93
	v_or_b32_e32 v96, 40, v93
	;; [unrolled: 1-line block ×7, first 2 shown]
	s_and_saveexec_b32 s3, vcc_lo
	s_cbranch_execz .LBB0_3
; %bb.2:
	s_load_b64 s[4:5], s[0:1], 0x18
	s_waitcnt lgkmcnt(0)
	s_load_b128 s[4:7], s[4:5], 0x0
	s_clause 0x5
	global_load_b128 v[0:3], v103, s[12:13]
	global_load_b128 v[4:7], v103, s[12:13] offset:128
	global_load_b128 v[8:11], v103, s[12:13] offset:256
	;; [unrolled: 1-line block ×5, first 2 shown]
	s_waitcnt lgkmcnt(0)
	v_mad_u64_u32 v[24:25], null, s6, v92, 0
	v_mad_u64_u32 v[26:27], null, s4, v93, 0
	;; [unrolled: 1-line block ×5, first 2 shown]
	s_delay_alu instid0(VALU_DEP_4) | instskip(SKIP_2) | instid1(VALU_DEP_4)
	v_mad_u64_u32 v[36:37], null, s7, v92, v[25:26]
	v_mad_u64_u32 v[32:33], null, s4, v96, 0
	;; [unrolled: 1-line block ×3, first 2 shown]
	v_mov_b32_e32 v34, v49
	v_mad_u64_u32 v[38:39], null, s5, v94, v[29:30]
	v_mov_b32_e32 v25, v36
	v_mad_u64_u32 v[39:40], null, s5, v95, v[31:32]
	;; [unrolled: 2-line block ×3, first 2 shown]
	s_delay_alu instid0(VALU_DEP_4)
	v_lshlrev_b64 v[24:25], 4, v[24:25]
	v_mad_u64_u32 v[60:61], null, s4, v101, 0
	v_mov_b32_e32 v29, v38
	v_mad_u64_u32 v[40:41], null, s5, v96, v[33:34]
	v_lshlrev_b64 v[26:27], 4, v[26:27]
	v_mov_b32_e32 v31, v39
	v_add_co_u32 v68, s2, s10, v24
	v_lshlrev_b64 v[28:29], 4, v[28:29]
	v_add_co_ci_u32_e64 v69, s2, s11, v25, s2
	v_mov_b32_e32 v35, v53
	v_lshlrev_b64 v[30:31], 4, v[30:31]
	v_add_co_u32 v26, s2, v68, v26
	v_mov_b32_e32 v33, v40
	v_add_co_ci_u32_e64 v27, s2, v69, v27, s2
	v_add_co_u32 v28, s2, v68, v28
	v_mad_u64_u32 v[41:42], null, s5, v97, v[34:35]
	v_add_co_ci_u32_e64 v29, s2, v69, v29, s2
	v_mad_u64_u32 v[53:54], null, s5, v99, v[35:36]
	v_lshlrev_b64 v[24:25], 4, v[32:33]
	v_add_co_u32 v36, s2, v68, v30
	s_lshl_b64 s[14:15], s[4:5], 8
	v_add_co_ci_u32_e64 v37, s2, v69, v31, s2
	v_add_co_u32 v32, s2, v26, s14
	s_delay_alu instid0(VALU_DEP_1)
	v_add_co_ci_u32_e64 v33, s2, s15, v27, s2
	v_mov_b32_e32 v49, v41
	v_add_co_u32 v44, s2, v68, v24
	v_mad_u64_u32 v[50:51], null, s4, v98, 0
	v_add_co_ci_u32_e64 v45, s2, v69, v25, s2
	v_add_co_u32 v54, s2, v32, s14
	s_delay_alu instid0(VALU_DEP_1) | instskip(SKIP_2) | instid1(VALU_DEP_4)
	v_add_co_ci_u32_e64 v55, s2, s15, v33, s2
	v_mad_u64_u32 v[56:57], null, s4, v100, 0
	v_lshlrev_b64 v[48:49], 4, v[48:49]
	v_add_co_u32 v78, s2, v54, s14
	s_clause 0x5
	global_load_b128 v[24:27], v[26:27], off
	global_load_b128 v[28:31], v[28:29], off
	;; [unrolled: 1-line block ×6, first 2 shown]
	v_add_co_ci_u32_e64 v79, s2, s15, v55, s2
	v_mad_u64_u32 v[54:55], null, s5, v98, v[51:52]
	v_add_co_u32 v82, s2, v68, v48
	v_mov_b32_e32 v51, v57
	v_add_co_ci_u32_e64 v83, s2, v69, v49, s2
	v_lshlrev_b64 v[48:49], 4, v[52:53]
	v_mov_b32_e32 v52, v61
	s_delay_alu instid0(VALU_DEP_1) | instskip(SKIP_3) | instid1(VALU_DEP_1)
	v_mad_u64_u32 v[57:58], null, s5, v100, v[51:52]
	v_mov_b32_e32 v51, v54
	v_mad_u64_u32 v[53:54], null, s5, v101, v[52:53]
	v_add_co_u32 v48, s2, v68, v48
	v_add_co_ci_u32_e64 v49, s2, v69, v49, s2
	v_lshlrev_b64 v[66:67], 4, v[56:57]
	v_add_co_u32 v90, s2, v78, s14
	v_mov_b32_e32 v61, v53
	v_add_co_ci_u32_e64 v91, s2, s15, v79, s2
	v_lshlrev_b64 v[62:63], 4, v[50:51]
	v_add_co_u32 v66, s2, v68, v66
	s_delay_alu instid0(VALU_DEP_4)
	v_lshlrev_b64 v[60:61], 4, v[60:61]
	v_add_co_ci_u32_e64 v67, s2, v69, v67, s2
	global_load_b128 v[48:51], v[48:49], off
	s_clause 0x1
	global_load_b128 v[52:55], v103, s[12:13] offset:1280
	global_load_b128 v[56:59], v103, s[12:13] offset:1408
	v_add_co_u32 v70, s2, v68, v60
	s_delay_alu instid0(VALU_DEP_1) | instskip(SKIP_1) | instid1(VALU_DEP_1)
	v_add_co_ci_u32_e64 v71, s2, v69, v61, s2
	v_add_co_u32 v112, s2, v68, v62
	v_add_co_ci_u32_e64 v113, s2, v69, v63, s2
	v_add_co_u32 v124, s2, v90, s14
	s_delay_alu instid0(VALU_DEP_1)
	v_add_co_ci_u32_e64 v125, s2, s15, v91, s2
	global_load_b128 v[60:63], v[66:67], off
	global_load_b128 v[66:69], v103, s[12:13] offset:1664
	global_load_b128 v[70:73], v[70:71], off
	global_load_b128 v[74:77], v103, s[12:13] offset:1920
	s_clause 0x1
	global_load_b128 v[78:81], v[78:79], off
	global_load_b128 v[82:85], v[82:83], off
	s_clause 0x1
	global_load_b128 v[86:89], v103, s[12:13] offset:768
	global_load_b128 v[104:107], v103, s[12:13] offset:896
	s_clause 0x1
	global_load_b128 v[108:111], v[90:91], off
	global_load_b128 v[112:115], v[112:113], off
	v_add_co_u32 v90, s2, v124, s14
	s_delay_alu instid0(VALU_DEP_1) | instskip(SKIP_4) | instid1(VALU_DEP_1)
	v_add_co_ci_u32_e64 v91, s2, s15, v125, s2
	s_clause 0x1
	global_load_b128 v[116:119], v103, s[12:13] offset:1024
	global_load_b128 v[120:123], v103, s[12:13] offset:1152
	v_add_co_u32 v140, s2, v90, s14
	v_add_co_ci_u32_e64 v141, s2, s15, v91, s2
	global_load_b128 v[124:127], v[124:125], off
	global_load_b128 v[128:131], v103, s[12:13] offset:1536
	global_load_b128 v[132:135], v[90:91], off
	global_load_b128 v[136:139], v103, s[12:13] offset:1792
	global_load_b128 v[140:143], v[140:141], off
	s_waitcnt vmcnt(25)
	v_mul_f64 v[90:91], v[26:27], v[2:3]
	v_mul_f64 v[2:3], v[24:25], v[2:3]
	s_waitcnt vmcnt(24)
	v_mul_f64 v[144:145], v[30:31], v[6:7]
	v_mul_f64 v[6:7], v[28:29], v[6:7]
	s_waitcnt vmcnt(23)
	v_mul_f64 v[152:153], v[34:35], v[10:11]
	v_mul_f64 v[154:155], v[32:33], v[10:11]
	s_waitcnt vmcnt(22)
	v_mul_f64 v[156:157], v[38:39], v[14:15]
	v_mul_f64 v[14:15], v[36:37], v[14:15]
	s_waitcnt vmcnt(21)
	v_mul_f64 v[158:159], v[42:43], v[18:19]
	v_mul_f64 v[18:19], v[40:41], v[18:19]
	s_waitcnt vmcnt(20)
	v_mul_f64 v[160:161], v[46:47], v[22:23]
	v_mul_f64 v[162:163], v[44:45], v[22:23]
	v_fma_f64 v[22:23], v[24:25], v[0:1], v[90:91]
	v_fma_f64 v[24:25], v[26:27], v[0:1], -v[2:3]
	v_fma_f64 v[0:1], v[28:29], v[4:5], v[144:145]
	v_fma_f64 v[2:3], v[30:31], v[4:5], -v[6:7]
	s_waitcnt vmcnt(17)
	v_mul_f64 v[146:147], v[50:51], v[58:59]
	v_mul_f64 v[58:59], v[48:49], v[58:59]
	v_fma_f64 v[30:31], v[32:33], v[8:9], v[152:153]
	v_fma_f64 v[32:33], v[34:35], v[8:9], -v[154:155]
	v_lshlrev_b32_e32 v8, 4, v64
	v_fma_f64 v[34:35], v[36:37], v[12:13], v[156:157]
	v_fma_f64 v[36:37], v[38:39], v[12:13], -v[14:15]
	v_fma_f64 v[14:15], v[40:41], v[16:17], v[158:159]
	v_fma_f64 v[16:17], v[42:43], v[16:17], -v[18:19]
	s_waitcnt vmcnt(15)
	v_mul_f64 v[148:149], v[62:63], v[68:69]
	v_mul_f64 v[68:69], v[60:61], v[68:69]
	s_waitcnt vmcnt(13)
	v_mul_f64 v[150:151], v[72:73], v[76:77]
	v_mul_f64 v[76:77], v[70:71], v[76:77]
	v_fma_f64 v[18:19], v[44:45], v[20:21], v[160:161]
	s_waitcnt vmcnt(10)
	v_mul_f64 v[164:165], v[80:81], v[88:89]
	v_mul_f64 v[88:89], v[78:79], v[88:89]
	s_waitcnt vmcnt(9)
	v_mul_f64 v[166:167], v[84:85], v[106:107]
	v_mul_f64 v[106:107], v[82:83], v[106:107]
	v_fma_f64 v[20:21], v[46:47], v[20:21], -v[162:163]
	s_waitcnt vmcnt(6)
	v_mul_f64 v[168:169], v[110:111], v[118:119]
	v_mul_f64 v[118:119], v[108:109], v[118:119]
	s_waitcnt vmcnt(5)
	v_mul_f64 v[170:171], v[114:115], v[122:123]
	v_mul_f64 v[122:123], v[112:113], v[122:123]
	;; [unrolled: 3-line block ×5, first 2 shown]
	v_fma_f64 v[4:5], v[48:49], v[56:57], v[146:147]
	v_fma_f64 v[6:7], v[50:51], v[56:57], -v[58:59]
	v_fma_f64 v[26:27], v[60:61], v[66:67], v[148:149]
	v_fma_f64 v[28:29], v[62:63], v[66:67], -v[68:69]
	;; [unrolled: 2-line block ×10, first 2 shown]
	ds_store_b128 v8, v[22:25]
	ds_store_b128 v102, v[0:3] offset:128
	ds_store_b128 v102, v[30:33] offset:256
	ds_store_b128 v102, v[34:37] offset:384
	ds_store_b128 v102, v[14:17] offset:512
	ds_store_b128 v102, v[18:21] offset:640
	ds_store_b128 v102, v[38:41] offset:768
	ds_store_b128 v102, v[42:45] offset:896
	ds_store_b128 v102, v[46:49] offset:1024
	ds_store_b128 v102, v[54:57] offset:1152
	ds_store_b128 v102, v[50:53] offset:1280
	ds_store_b128 v102, v[4:7] offset:1408
	ds_store_b128 v102, v[58:61] offset:1536
	ds_store_b128 v102, v[26:29] offset:1664
	ds_store_b128 v102, v[66:69] offset:1792
	ds_store_b128 v102, v[10:13] offset:1920
.LBB0_3:
	s_or_b32 exec_lo, exec_lo, s3
	s_load_b64 s[2:3], s[0:1], 0x20
	s_waitcnt lgkmcnt(0)
	s_barrier
	buffer_gl0_inv
                                        ; implicit-def: $vgpr34_vgpr35
                                        ; implicit-def: $vgpr2_vgpr3
                                        ; implicit-def: $vgpr56_vgpr57
                                        ; implicit-def: $vgpr60_vgpr61
                                        ; implicit-def: $vgpr48_vgpr49
                                        ; implicit-def: $vgpr52_vgpr53
                                        ; implicit-def: $vgpr40_vgpr41
                                        ; implicit-def: $vgpr44_vgpr45
                                        ; implicit-def: $vgpr36_vgpr37
                                        ; implicit-def: $vgpr28_vgpr29
                                        ; implicit-def: $vgpr24_vgpr25
                                        ; implicit-def: $vgpr20_vgpr21
                                        ; implicit-def: $vgpr16_vgpr17
                                        ; implicit-def: $vgpr12_vgpr13
                                        ; implicit-def: $vgpr8_vgpr9
                                        ; implicit-def: $vgpr4_vgpr5
	s_and_saveexec_b32 s4, vcc_lo
	s_cbranch_execz .LBB0_5
; %bb.4:
	v_lshlrev_b32_e32 v56, 4, v64
	ds_load_b128 v[0:3], v56
	ds_load_b128 v[4:7], v56 offset:128
	ds_load_b128 v[8:11], v56 offset:256
	;; [unrolled: 1-line block ×15, first 2 shown]
.LBB0_5:
	s_or_b32 exec_lo, exec_lo, s4
	s_waitcnt lgkmcnt(7)
	v_add_f64 v[36:37], v[0:1], -v[36:37]
	v_add_f64 v[38:39], v[2:3], -v[38:39]
	s_waitcnt lgkmcnt(3)
	v_add_f64 v[52:53], v[16:17], -v[52:53]
	v_add_f64 v[54:55], v[18:19], -v[54:55]
	;; [unrolled: 1-line block ×4, first 2 shown]
	s_waitcnt lgkmcnt(1)
	v_add_f64 v[60:61], v[24:25], -v[60:61]
	v_add_f64 v[62:63], v[26:27], -v[62:63]
	;; [unrolled: 1-line block ×8, first 2 shown]
	s_waitcnt lgkmcnt(0)
	v_add_f64 v[58:59], v[30:31], -v[58:59]
	v_add_f64 v[56:57], v[28:29], -v[56:57]
	s_mov_b32 s4, 0x667f3bcd
	s_mov_b32 s5, 0xbfe6a09e
	;; [unrolled: 1-line block ×12, first 2 shown]
	s_load_b64 s[0:1], s[0:1], 0x8
	s_waitcnt lgkmcnt(0)
	s_barrier
	buffer_gl0_inv
	v_fma_f64 v[0:1], v[0:1], 2.0, -v[36:37]
	v_fma_f64 v[2:3], v[2:3], 2.0, -v[38:39]
	v_add_f64 v[68:69], v[38:39], v[52:53]
	v_add_f64 v[66:67], v[36:37], -v[54:55]
	v_fma_f64 v[16:17], v[16:17], 2.0, -v[52:53]
	v_fma_f64 v[18:19], v[18:19], 2.0, -v[54:55]
	v_add_f64 v[72:73], v[60:61], v[46:47]
	v_add_f64 v[70:71], v[44:45], -v[62:63]
	;; [unrolled: 4-line block ×3, first 2 shown]
	v_fma_f64 v[24:25], v[24:25], 2.0, -v[60:61]
	v_fma_f64 v[26:27], v[26:27], 2.0, -v[62:63]
	v_add_f64 v[78:79], v[40:41], -v[58:59]
	v_add_f64 v[80:81], v[56:57], v[42:43]
	v_fma_f64 v[4:5], v[4:5], 2.0, -v[32:33]
	v_fma_f64 v[6:7], v[6:7], 2.0, -v[34:35]
	;; [unrolled: 1-line block ×10, first 2 shown]
	v_add_f64 v[16:17], v[0:1], -v[16:17]
	v_add_f64 v[18:19], v[2:3], -v[18:19]
	v_fma_f64 v[46:47], v[46:47], 2.0, -v[72:73]
	v_fma_f64 v[44:45], v[44:45], 2.0, -v[70:71]
	;; [unrolled: 1-line block ×4, first 2 shown]
	v_add_f64 v[24:25], v[8:9], -v[24:25]
	v_add_f64 v[26:27], v[10:11], -v[26:27]
	v_fma_f64 v[40:41], v[40:41], 2.0, -v[78:79]
	v_fma_f64 v[42:43], v[42:43], 2.0, -v[80:81]
	v_fma_f64 v[52:53], v[78:79], s[6:7], v[74:75]
	v_fma_f64 v[54:55], v[80:81], s[6:7], v[76:77]
	v_add_f64 v[48:49], v[4:5], -v[20:21]
	v_add_f64 v[50:51], v[6:7], -v[22:23]
	v_fma_f64 v[20:21], v[70:71], s[6:7], v[66:67]
	v_fma_f64 v[22:23], v[72:73], s[6:7], v[68:69]
	v_add_f64 v[28:29], v[12:13], -v[28:29]
	v_add_f64 v[30:31], v[14:15], -v[30:31]
	v_fma_f64 v[84:85], v[0:1], 2.0, -v[16:17]
	v_fma_f64 v[86:87], v[2:3], 2.0, -v[18:19]
	v_fma_f64 v[58:59], v[46:47], s[4:5], v[38:39]
	v_fma_f64 v[56:57], v[44:45], s[4:5], v[36:37]
	v_fma_f64 v[8:9], v[8:9], 2.0, -v[24:25]
	v_fma_f64 v[10:11], v[10:11], 2.0, -v[26:27]
	v_fma_f64 v[60:61], v[40:41], s[4:5], v[32:33]
	v_fma_f64 v[82:83], v[42:43], s[4:5], v[34:35]
	v_add_f64 v[0:1], v[16:17], -v[26:27]
	v_add_f64 v[24:25], v[18:19], v[24:25]
	v_fma_f64 v[88:89], v[4:5], 2.0, -v[48:49]
	v_fma_f64 v[90:91], v[6:7], 2.0, -v[50:51]
	v_fma_f64 v[2:3], v[72:73], s[4:5], v[20:21]
	v_fma_f64 v[62:63], v[70:71], s[6:7], v[22:23]
	v_fma_f64 v[12:13], v[12:13], 2.0, -v[28:29]
	v_fma_f64 v[14:15], v[14:15], 2.0, -v[30:31]
	v_add_f64 v[30:31], v[48:49], -v[30:31]
	v_add_f64 v[28:29], v[28:29], v[50:51]
	v_fma_f64 v[70:71], v[80:81], s[4:5], v[52:53]
	v_fma_f64 v[52:53], v[78:79], s[6:7], v[54:55]
	;; [unrolled: 1-line block ×4, first 2 shown]
	v_add_f64 v[6:7], v[84:85], -v[8:9]
	v_add_f64 v[20:21], v[86:87], -v[10:11]
	v_fma_f64 v[54:55], v[42:43], s[4:5], v[60:61]
	v_fma_f64 v[72:73], v[40:41], s[6:7], v[82:83]
	v_fma_f64 v[8:9], v[16:17], 2.0, -v[0:1]
	v_fma_f64 v[16:17], v[18:19], 2.0, -v[24:25]
	;; [unrolled: 1-line block ×4, first 2 shown]
	v_add_f64 v[40:41], v[88:89], -v[12:13]
	v_add_f64 v[42:43], v[90:91], -v[14:15]
	v_fma_f64 v[46:47], v[48:49], 2.0, -v[30:31]
	v_fma_f64 v[44:45], v[50:51], 2.0, -v[28:29]
	;; [unrolled: 1-line block ×4, first 2 shown]
	v_fma_f64 v[58:59], v[28:29], s[6:7], v[24:25]
	v_fma_f64 v[68:69], v[70:71], s[18:19], v[2:3]
	;; [unrolled: 1-line block ×3, first 2 shown]
	v_fma_f64 v[14:15], v[38:39], 2.0, -v[22:23]
	v_fma_f64 v[12:13], v[36:37], 2.0, -v[4:5]
	;; [unrolled: 1-line block ×6, first 2 shown]
	v_fma_f64 v[34:35], v[30:31], s[6:7], v[0:1]
	v_fma_f64 v[86:87], v[54:55], s[16:17], v[4:5]
	v_fma_f64 v[74:75], v[88:89], 2.0, -v[40:41]
	v_fma_f64 v[76:77], v[90:91], 2.0, -v[42:43]
	v_fma_f64 v[78:79], v[46:47], s[4:5], v[8:9]
	v_fma_f64 v[80:81], v[44:45], s[4:5], v[16:17]
	;; [unrolled: 1-line block ×5, first 2 shown]
	v_add_f64 v[36:37], v[6:7], -v[42:43]
	v_add_f64 v[38:39], v[20:21], v[40:41]
	v_fma_f64 v[58:59], v[30:31], s[6:7], v[58:59]
	v_fma_f64 v[52:53], v[52:53], s[14:15], v[68:69]
	;; [unrolled: 1-line block ×5, first 2 shown]
	v_add_f64 v[28:29], v[26:27], -v[74:75]
	v_add_f64 v[30:31], v[60:61], -v[76:77]
	v_fma_f64 v[44:45], v[44:45], s[4:5], v[78:79]
	v_fma_f64 v[46:47], v[46:47], s[6:7], v[80:81]
	;; [unrolled: 1-line block ×9, first 2 shown]
	v_lshlrev_b32_e32 v105, 4, v65
	s_and_saveexec_b32 s10, vcc_lo
	s_cbranch_execz .LBB0_7
; %bb.6:
	v_fma_f64 v[79:80], v[60:61], 2.0, -v[30:31]
	v_fma_f64 v[77:78], v[26:27], 2.0, -v[28:29]
	s_delay_alu instid0(VALU_DEP_4)
	v_fma_f64 v[75:76], v[14:15], 2.0, -v[34:35]
	v_fma_f64 v[73:74], v[12:13], 2.0, -v[32:33]
	;; [unrolled: 1-line block ×14, first 2 shown]
	v_lshl_or_b32 v0, v93, 8, v105
	ds_store_b128 v0, v[28:31] offset:128
	ds_store_b128 v0, v[32:35] offset:144
	;; [unrolled: 1-line block ×6, first 2 shown]
	ds_store_b128 v0, v[77:80]
	ds_store_b128 v0, v[73:76] offset:16
	ds_store_b128 v0, v[14:17] offset:32
	;; [unrolled: 1-line block ×9, first 2 shown]
.LBB0_7:
	s_or_b32 exec_lo, exec_lo, s10
	v_mad_u64_u32 v[16:17], null, 0x70, v93, s[0:1]
	s_load_b128 s[0:3], s[2:3], 0x0
	s_waitcnt lgkmcnt(0)
	s_barrier
	buffer_gl0_inv
	v_lshlrev_b32_e32 v104, 4, v64
	s_clause 0x6
	global_load_b128 v[8:11], v[16:17], off
	global_load_b128 v[4:7], v[16:17], off offset:16
	global_load_b128 v[0:3], v[16:17], off offset:48
	;; [unrolled: 1-line block ×6, first 2 shown]
	ds_load_b128 v[60:63], v104 offset:256
	ds_load_b128 v[64:67], v104 offset:512
	ds_load_b128 v[68:71], v104 offset:1024
	ds_load_b128 v[72:75], v104 offset:1536
	ds_load_b128 v[76:79], v104 offset:1280
	ds_load_b128 v[80:83], v104 offset:768
	ds_load_b128 v[84:87], v104 offset:1792
	s_waitcnt vmcnt(6) lgkmcnt(6)
	v_mul_f64 v[88:89], v[62:63], v[10:11]
	v_mul_f64 v[90:91], v[60:61], v[10:11]
	s_waitcnt vmcnt(5) lgkmcnt(5)
	v_mul_f64 v[106:107], v[66:67], v[6:7]
	v_mul_f64 v[108:109], v[64:65], v[6:7]
	;; [unrolled: 3-line block ×7, first 2 shown]
	v_fma_f64 v[88:89], v[60:61], v[8:9], -v[88:89]
	v_fma_f64 v[90:91], v[62:63], v[8:9], v[90:91]
	v_fma_f64 v[64:65], v[64:65], v[4:5], -v[106:107]
	v_fma_f64 v[66:67], v[66:67], v[4:5], v[108:109]
	;; [unrolled: 2-line block ×7, first 2 shown]
	ds_load_b128 v[60:63], v104
	s_waitcnt lgkmcnt(0)
	v_add_f64 v[68:69], v[60:61], -v[68:69]
	v_add_f64 v[70:71], v[62:63], -v[70:71]
	;; [unrolled: 1-line block ×8, first 2 shown]
	v_fma_f64 v[60:61], v[60:61], 2.0, -v[68:69]
	v_fma_f64 v[62:63], v[62:63], 2.0, -v[70:71]
	;; [unrolled: 1-line block ×6, first 2 shown]
	v_add_f64 v[106:107], v[68:69], -v[74:75]
	v_add_f64 v[108:109], v[70:71], v[72:73]
	v_fma_f64 v[72:73], v[80:81], 2.0, -v[84:85]
	v_fma_f64 v[74:75], v[82:83], 2.0, -v[86:87]
	v_add_f64 v[80:81], v[76:77], -v[86:87]
	v_add_f64 v[82:83], v[78:79], v[84:85]
	v_add_f64 v[64:65], v[60:61], -v[64:65]
	v_add_f64 v[66:67], v[62:63], -v[66:67]
	v_fma_f64 v[110:111], v[68:69], 2.0, -v[106:107]
	v_fma_f64 v[112:113], v[70:71], 2.0, -v[108:109]
	v_add_f64 v[68:69], v[88:89], -v[72:73]
	v_add_f64 v[70:71], v[90:91], -v[74:75]
	v_fma_f64 v[76:77], v[76:77], 2.0, -v[80:81]
	v_fma_f64 v[78:79], v[78:79], 2.0, -v[82:83]
	v_fma_f64 v[72:73], v[80:81], s[6:7], v[106:107]
	v_fma_f64 v[74:75], v[82:83], s[6:7], v[108:109]
	v_fma_f64 v[60:61], v[60:61], 2.0, -v[64:65]
	v_fma_f64 v[62:63], v[62:63], 2.0, -v[66:67]
	;; [unrolled: 1-line block ×4, first 2 shown]
	v_fma_f64 v[118:119], v[76:77], s[4:5], v[110:111]
	v_fma_f64 v[120:121], v[78:79], s[4:5], v[112:113]
	v_add_f64 v[84:85], v[64:65], -v[70:71]
	v_add_f64 v[86:87], v[66:67], v[68:69]
	v_fma_f64 v[88:89], v[82:83], s[4:5], v[72:73]
	v_fma_f64 v[90:91], v[80:81], s[6:7], v[74:75]
	v_add_f64 v[72:73], v[60:61], -v[114:115]
	v_add_f64 v[74:75], v[62:63], -v[116:117]
	v_fma_f64 v[80:81], v[78:79], s[4:5], v[118:119]
	v_fma_f64 v[82:83], v[76:77], s[6:7], v[120:121]
	v_fma_f64 v[68:69], v[64:65], 2.0, -v[84:85]
	v_fma_f64 v[70:71], v[66:67], 2.0, -v[86:87]
	;; [unrolled: 1-line block ×8, first 2 shown]
	ds_store_b128 v104, v[84:87] offset:1536
	ds_store_b128 v104, v[88:91] offset:1792
	;; [unrolled: 1-line block ×6, first 2 shown]
	ds_store_b128 v104, v[60:63]
	ds_store_b128 v104, v[64:67] offset:256
	s_waitcnt lgkmcnt(0)
	s_barrier
	buffer_gl0_inv
	s_and_saveexec_b32 s6, vcc_lo
	s_cbranch_execz .LBB0_9
; %bb.8:
	global_load_b128 v[106:109], v103, s[12:13] offset:2048
	s_add_u32 s4, s12, 0x800
	s_addc_u32 s5, s13, 0
	ds_load_b128 v[114:117], v104
	global_load_b128 v[110:113], v103, s[4:5] offset:128
	s_waitcnt vmcnt(1) lgkmcnt(0)
	v_mul_f64 v[118:119], v[116:117], v[108:109]
	v_mul_f64 v[108:109], v[114:115], v[108:109]
	s_delay_alu instid0(VALU_DEP_2) | instskip(NEXT) | instid1(VALU_DEP_2)
	v_fma_f64 v[114:115], v[114:115], v[106:107], -v[118:119]
	v_fma_f64 v[116:117], v[116:117], v[106:107], v[108:109]
	ds_store_b128 v104, v[114:117]
	ds_load_b128 v[106:109], v102 offset:128
	ds_load_b128 v[114:117], v102 offset:256
	s_waitcnt vmcnt(0) lgkmcnt(1)
	v_mul_f64 v[118:119], v[108:109], v[112:113]
	v_mul_f64 v[112:113], v[106:107], v[112:113]
	s_delay_alu instid0(VALU_DEP_2) | instskip(NEXT) | instid1(VALU_DEP_2)
	v_fma_f64 v[106:107], v[106:107], v[110:111], -v[118:119]
	v_fma_f64 v[108:109], v[108:109], v[110:111], v[112:113]
	s_clause 0x1
	global_load_b128 v[110:113], v103, s[4:5] offset:256
	global_load_b128 v[118:121], v103, s[4:5] offset:384
	s_waitcnt vmcnt(1) lgkmcnt(0)
	v_mul_f64 v[122:123], v[116:117], v[112:113]
	v_mul_f64 v[124:125], v[114:115], v[112:113]
	s_delay_alu instid0(VALU_DEP_2) | instskip(NEXT) | instid1(VALU_DEP_2)
	v_fma_f64 v[112:113], v[114:115], v[110:111], -v[122:123]
	v_fma_f64 v[114:115], v[116:117], v[110:111], v[124:125]
	ds_load_b128 v[122:125], v102 offset:384
	ds_load_b128 v[126:129], v102 offset:512
	s_waitcnt vmcnt(0) lgkmcnt(1)
	v_mul_f64 v[110:111], v[124:125], v[120:121]
	v_mul_f64 v[120:121], v[122:123], v[120:121]
	s_delay_alu instid0(VALU_DEP_2) | instskip(NEXT) | instid1(VALU_DEP_2)
	v_fma_f64 v[116:117], v[122:123], v[118:119], -v[110:111]
	v_fma_f64 v[118:119], v[124:125], v[118:119], v[120:121]
	s_clause 0x1
	global_load_b128 v[120:123], v103, s[4:5] offset:512
	global_load_b128 v[130:133], v103, s[4:5] offset:640
	s_waitcnt vmcnt(1) lgkmcnt(0)
	v_mul_f64 v[110:111], v[128:129], v[122:123]
	v_mul_f64 v[124:125], v[126:127], v[122:123]
	s_delay_alu instid0(VALU_DEP_2) | instskip(NEXT) | instid1(VALU_DEP_2)
	v_fma_f64 v[122:123], v[126:127], v[120:121], -v[110:111]
	v_fma_f64 v[124:125], v[128:129], v[120:121], v[124:125]
	ds_load_b128 v[126:129], v102 offset:640
	ds_load_b128 v[134:137], v102 offset:768
	s_waitcnt vmcnt(0) lgkmcnt(1)
	v_mul_f64 v[110:111], v[128:129], v[132:133]
	v_mul_f64 v[120:121], v[126:127], v[132:133]
	s_delay_alu instid0(VALU_DEP_2) | instskip(NEXT) | instid1(VALU_DEP_2)
	v_fma_f64 v[126:127], v[126:127], v[130:131], -v[110:111]
	v_fma_f64 v[128:129], v[128:129], v[130:131], v[120:121]
	s_clause 0x1
	global_load_b128 v[130:133], v103, s[4:5] offset:768
	global_load_b128 v[138:141], v103, s[4:5] offset:896
	ds_load_b128 v[142:145], v102 offset:896
	ds_load_b128 v[146:149], v102 offset:1024
	s_waitcnt vmcnt(1) lgkmcnt(2)
	v_mul_f64 v[110:111], v[136:137], v[132:133]
	v_mul_f64 v[120:121], v[134:135], v[132:133]
	s_delay_alu instid0(VALU_DEP_2) | instskip(SKIP_2) | instid1(VALU_DEP_3)
	v_fma_f64 v[132:133], v[134:135], v[130:131], -v[110:111]
	s_waitcnt vmcnt(0) lgkmcnt(1)
	v_mul_f64 v[110:111], v[144:145], v[140:141]
	v_fma_f64 v[134:135], v[136:137], v[130:131], v[120:121]
	v_mul_f64 v[120:121], v[142:143], v[140:141]
	s_delay_alu instid0(VALU_DEP_3)
	v_fma_f64 v[136:137], v[142:143], v[138:139], -v[110:111]
	s_clause 0x1
	global_load_b128 v[140:143], v103, s[4:5] offset:1024
	global_load_b128 v[150:153], v103, s[4:5] offset:1152
	v_fma_f64 v[138:139], v[144:145], v[138:139], v[120:121]
	s_waitcnt vmcnt(1) lgkmcnt(0)
	v_mul_f64 v[110:111], v[148:149], v[142:143]
	v_mul_f64 v[120:121], v[146:147], v[142:143]
	s_delay_alu instid0(VALU_DEP_2) | instskip(NEXT) | instid1(VALU_DEP_2)
	v_fma_f64 v[142:143], v[146:147], v[140:141], -v[110:111]
	v_fma_f64 v[144:145], v[148:149], v[140:141], v[120:121]
	ds_load_b128 v[146:149], v102 offset:1152
	ds_load_b128 v[154:157], v102 offset:1280
	s_waitcnt vmcnt(0) lgkmcnt(1)
	v_mul_f64 v[110:111], v[148:149], v[152:153]
	v_mul_f64 v[120:121], v[146:147], v[152:153]
	s_delay_alu instid0(VALU_DEP_2) | instskip(NEXT) | instid1(VALU_DEP_2)
	v_fma_f64 v[146:147], v[146:147], v[150:151], -v[110:111]
	v_fma_f64 v[148:149], v[148:149], v[150:151], v[120:121]
	s_clause 0x1
	global_load_b128 v[150:153], v103, s[4:5] offset:1280
	global_load_b128 v[158:161], v103, s[4:5] offset:1408
	ds_load_b128 v[162:165], v102 offset:1408
	ds_load_b128 v[166:169], v102 offset:1536
	s_waitcnt vmcnt(1) lgkmcnt(2)
	v_mul_f64 v[110:111], v[156:157], v[152:153]
	v_mul_f64 v[120:121], v[154:155], v[152:153]
	s_delay_alu instid0(VALU_DEP_2) | instskip(SKIP_2) | instid1(VALU_DEP_3)
	v_fma_f64 v[152:153], v[154:155], v[150:151], -v[110:111]
	s_waitcnt vmcnt(0) lgkmcnt(1)
	v_mul_f64 v[110:111], v[164:165], v[160:161]
	v_fma_f64 v[154:155], v[156:157], v[150:151], v[120:121]
	v_mul_f64 v[120:121], v[162:163], v[160:161]
	s_delay_alu instid0(VALU_DEP_3)
	v_fma_f64 v[156:157], v[162:163], v[158:159], -v[110:111]
	s_clause 0x1
	global_load_b128 v[160:163], v103, s[4:5] offset:1536
	global_load_b128 v[170:173], v103, s[4:5] offset:1664
	v_fma_f64 v[158:159], v[164:165], v[158:159], v[120:121]
	s_waitcnt vmcnt(1) lgkmcnt(0)
	v_mul_f64 v[110:111], v[168:169], v[162:163]
	v_mul_f64 v[120:121], v[166:167], v[162:163]
	s_delay_alu instid0(VALU_DEP_2) | instskip(NEXT) | instid1(VALU_DEP_2)
	v_fma_f64 v[162:163], v[166:167], v[160:161], -v[110:111]
	v_fma_f64 v[164:165], v[168:169], v[160:161], v[120:121]
	ds_load_b128 v[166:169], v102 offset:1664
	ds_load_b128 v[174:177], v102 offset:1792
	s_waitcnt vmcnt(0) lgkmcnt(1)
	v_mul_f64 v[110:111], v[168:169], v[172:173]
	v_mul_f64 v[120:121], v[166:167], v[172:173]
	s_delay_alu instid0(VALU_DEP_2) | instskip(NEXT) | instid1(VALU_DEP_2)
	v_fma_f64 v[166:167], v[166:167], v[170:171], -v[110:111]
	v_fma_f64 v[168:169], v[168:169], v[170:171], v[120:121]
	s_clause 0x1
	global_load_b128 v[170:173], v103, s[4:5] offset:1792
	global_load_b128 v[178:181], v103, s[4:5] offset:1920
	ds_load_b128 v[182:185], v102 offset:1920
	s_waitcnt vmcnt(1) lgkmcnt(1)
	v_mul_f64 v[110:111], v[176:177], v[172:173]
	v_mul_f64 v[120:121], v[174:175], v[172:173]
	s_delay_alu instid0(VALU_DEP_2) | instskip(NEXT) | instid1(VALU_DEP_2)
	v_fma_f64 v[172:173], v[174:175], v[170:171], -v[110:111]
	v_fma_f64 v[174:175], v[176:177], v[170:171], v[120:121]
	s_waitcnt vmcnt(0) lgkmcnt(0)
	v_mul_f64 v[110:111], v[184:185], v[180:181]
	v_mul_f64 v[120:121], v[182:183], v[180:181]
	s_delay_alu instid0(VALU_DEP_2) | instskip(NEXT) | instid1(VALU_DEP_2)
	v_fma_f64 v[176:177], v[182:183], v[178:179], -v[110:111]
	v_fma_f64 v[178:179], v[184:185], v[178:179], v[120:121]
	ds_store_b128 v102, v[106:109] offset:128
	ds_store_b128 v102, v[112:115] offset:256
	;; [unrolled: 1-line block ×15, first 2 shown]
.LBB0_9:
	s_or_b32 exec_lo, exec_lo, s6
	s_waitcnt lgkmcnt(0)
	s_barrier
	buffer_gl0_inv
	s_and_saveexec_b32 s4, vcc_lo
	s_cbranch_execz .LBB0_11
; %bb.10:
	ds_load_b128 v[60:63], v104
	ds_load_b128 v[64:67], v104 offset:128
	ds_load_b128 v[68:71], v104 offset:256
	;; [unrolled: 1-line block ×15, first 2 shown]
.LBB0_11:
	s_or_b32 exec_lo, exec_lo, s4
	s_waitcnt lgkmcnt(0)
	s_barrier
	buffer_gl0_inv
	s_and_saveexec_b32 s10, vcc_lo
	s_cbranch_execz .LBB0_13
; %bb.12:
	v_add_f64 v[46:47], v[70:71], -v[46:47]
	v_add_f64 v[56:57], v[84:85], -v[56:57]
	;; [unrolled: 1-line block ×16, first 2 shown]
	s_mov_b32 s4, 0x667f3bcd
	s_mov_b32 s5, 0x3fe6a09e
	;; [unrolled: 1-line block ×12, first 2 shown]
	v_lshl_or_b32 v105, v93, 8, v105
	v_fma_f64 v[70:71], v[70:71], 2.0, -v[46:47]
	v_add_f64 v[108:109], v[46:47], -v[56:57]
	v_fma_f64 v[62:63], v[62:63], 2.0, -v[30:31]
	v_add_f64 v[106:107], v[30:31], -v[36:37]
	v_fma_f64 v[56:57], v[84:85], 2.0, -v[56:57]
	v_add_f64 v[110:111], v[58:59], v[44:45]
	v_fma_f64 v[68:69], v[68:69], 2.0, -v[44:45]
	v_add_f64 v[114:115], v[42:43], -v[52:53]
	v_fma_f64 v[58:59], v[86:87], 2.0, -v[58:59]
	v_add_f64 v[112:113], v[34:35], -v[48:49]
	v_fma_f64 v[48:49], v[80:81], 2.0, -v[48:49]
	v_add_f64 v[116:117], v[54:55], v[40:41]
	v_fma_f64 v[52:53], v[88:89], 2.0, -v[52:53]
	v_add_f64 v[118:119], v[50:51], v[32:33]
	;; [unrolled: 2-line block ×3, first 2 shown]
	v_fma_f64 v[38:39], v[74:75], 2.0, -v[38:39]
	v_fma_f64 v[74:75], v[76:77], 2.0, -v[40:41]
	;; [unrolled: 1-line block ×10, first 2 shown]
	v_fma_f64 v[72:73], v[108:109], s[4:5], v[106:107]
	v_fma_f64 v[44:45], v[44:45], 2.0, -v[110:111]
	v_add_f64 v[56:57], v[68:69], -v[56:57]
	v_fma_f64 v[42:43], v[42:43], 2.0, -v[114:115]
	v_add_f64 v[58:59], v[70:71], -v[58:59]
	v_fma_f64 v[34:35], v[34:35], 2.0, -v[112:113]
	v_fma_f64 v[78:79], v[114:115], s[4:5], v[112:113]
	v_fma_f64 v[40:41], v[40:41], 2.0, -v[116:117]
	v_fma_f64 v[32:33], v[32:33], 2.0, -v[118:119]
	v_add_f64 v[48:49], v[64:65], -v[48:49]
	v_fma_f64 v[28:29], v[28:29], 2.0, -v[120:121]
	v_add_f64 v[38:39], v[62:63], -v[38:39]
	v_add_f64 v[52:53], v[74:75], -v[52:53]
	v_fma_f64 v[80:81], v[116:117], s[4:5], v[118:119]
	v_fma_f64 v[82:83], v[110:111], s[4:5], v[120:121]
	v_add_f64 v[50:51], v[66:67], -v[50:51]
	v_add_f64 v[54:55], v[76:77], -v[54:55]
	;; [unrolled: 1-line block ×3, first 2 shown]
	v_fma_f64 v[84:85], v[46:47], s[6:7], v[30:31]
	v_fma_f64 v[72:73], v[110:111], s[6:7], v[72:73]
	v_fma_f64 v[70:71], v[70:71], 2.0, -v[58:59]
	v_fma_f64 v[86:87], v[42:43], s[6:7], v[34:35]
	v_fma_f64 v[78:79], v[116:117], s[6:7], v[78:79]
	;; [unrolled: 1-line block ×3, first 2 shown]
	v_fma_f64 v[64:65], v[64:65], 2.0, -v[48:49]
	v_fma_f64 v[90:91], v[44:45], s[6:7], v[28:29]
	v_fma_f64 v[62:63], v[62:63], 2.0, -v[38:39]
	v_fma_f64 v[74:75], v[74:75], 2.0, -v[52:53]
	v_fma_f64 v[80:81], v[114:115], s[4:5], v[80:81]
	v_fma_f64 v[82:83], v[108:109], s[4:5], v[82:83]
	v_add_f64 v[108:109], v[38:39], -v[56:57]
	v_add_f64 v[52:53], v[50:51], -v[52:53]
	v_add_f64 v[110:111], v[54:55], v[48:49]
	v_add_f64 v[114:115], v[36:37], v[58:59]
	v_fma_f64 v[58:59], v[60:61], 2.0, -v[36:37]
	v_fma_f64 v[56:57], v[68:69], 2.0, -v[56:57]
	;; [unrolled: 1-line block ×4, first 2 shown]
	v_fma_f64 v[84:85], v[44:45], s[6:7], v[84:85]
	v_fma_f64 v[66:67], v[40:41], s[6:7], v[86:87]
	v_fma_f64 v[76:77], v[112:113], 2.0, -v[78:79]
	v_fma_f64 v[68:69], v[42:43], s[4:5], v[88:89]
	v_fma_f64 v[86:87], v[46:47], s[4:5], v[90:91]
	v_add_f64 v[70:71], v[62:63], -v[70:71]
	v_add_f64 v[40:41], v[64:65], -v[74:75]
	v_fma_f64 v[74:75], v[106:107], 2.0, -v[72:73]
	v_fma_f64 v[42:43], v[118:119], 2.0, -v[80:81]
	;; [unrolled: 1-line block ×7, first 2 shown]
	v_add_f64 v[112:113], v[58:59], -v[56:57]
	v_fma_f64 v[38:39], v[110:111], s[4:5], v[114:115]
	v_add_f64 v[36:37], v[60:61], -v[54:55]
	v_fma_f64 v[48:49], v[80:81], s[14:15], v[82:83]
	v_fma_f64 v[116:117], v[30:31], 2.0, -v[84:85]
	v_fma_f64 v[56:57], v[34:35], 2.0, -v[66:67]
	v_fma_f64 v[50:51], v[66:67], s[18:19], v[84:85]
	v_fma_f64 v[118:119], v[32:33], 2.0, -v[68:69]
	v_fma_f64 v[32:33], v[52:53], s[4:5], v[108:109]
	;; [unrolled: 2-line block ×3, first 2 shown]
	v_fma_f64 v[54:55], v[68:69], s[18:19], v[86:87]
	v_fma_f64 v[122:123], v[76:77], s[16:17], v[74:75]
	v_fma_f64 v[130:131], v[62:63], 2.0, -v[70:71]
	v_fma_f64 v[124:125], v[44:45], s[6:7], v[88:89]
	v_fma_f64 v[126:127], v[46:47], s[6:7], v[90:91]
	;; [unrolled: 1-line block ×3, first 2 shown]
	v_fma_f64 v[132:133], v[58:59], 2.0, -v[112:113]
	v_fma_f64 v[58:59], v[64:65], 2.0, -v[40:41]
	;; [unrolled: 1-line block ×3, first 2 shown]
	v_add_f64 v[36:37], v[112:113], v[36:37]
	v_fma_f64 v[62:63], v[56:57], s[20:21], v[116:117]
	v_fma_f64 v[50:51], v[68:69], s[20:21], v[50:51]
	v_fma_f64 v[34:35], v[110:111], s[6:7], v[32:33]
	v_fma_f64 v[64:65], v[118:119], s[20:21], v[120:121]
	v_fma_f64 v[32:33], v[52:53], s[4:5], v[38:39]
	v_fma_f64 v[30:31], v[80:81], s[16:17], v[28:29]
	v_fma_f64 v[28:29], v[78:79], s[18:19], v[48:49]
	v_add_f64 v[38:39], v[70:71], -v[40:41]
	v_fma_f64 v[42:43], v[42:43], s[20:21], v[122:123]
	v_fma_f64 v[46:47], v[46:47], s[6:7], v[124:125]
	;; [unrolled: 1-line block ×5, first 2 shown]
	v_add_f64 v[52:53], v[132:133], -v[58:59]
	v_add_f64 v[54:55], v[130:131], -v[60:61]
	v_fma_f64 v[68:69], v[112:113], 2.0, -v[36:37]
	v_fma_f64 v[58:59], v[118:119], s[16:17], v[62:63]
	v_fma_f64 v[66:67], v[108:109], 2.0, -v[34:35]
	v_fma_f64 v[56:57], v[56:57], s[18:19], v[64:65]
	v_fma_f64 v[64:65], v[114:115], 2.0, -v[32:33]
	v_fma_f64 v[62:63], v[72:73], 2.0, -v[30:31]
	;; [unrolled: 1-line block ×14, first 2 shown]
	ds_store_b128 v105, v[64:67] offset:96
	ds_store_b128 v105, v[60:63] offset:112
	;; [unrolled: 1-line block ×12, first 2 shown]
	ds_store_b128 v105, v[84:87]
	ds_store_b128 v105, v[88:91] offset:16
	ds_store_b128 v105, v[32:35] offset:224
	;; [unrolled: 1-line block ×3, first 2 shown]
.LBB0_13:
	s_or_b32 exec_lo, exec_lo, s10
	s_waitcnt lgkmcnt(0)
	s_barrier
	buffer_gl0_inv
	ds_load_b128 v[28:31], v104 offset:256
	ds_load_b128 v[32:35], v104 offset:512
	;; [unrolled: 1-line block ×7, first 2 shown]
	s_mov_b32 s4, 0x667f3bcd
	s_mov_b32 s5, 0xbfe6a09e
	;; [unrolled: 1-line block ×4, first 2 shown]
	s_waitcnt lgkmcnt(6)
	v_mul_f64 v[56:57], v[10:11], v[30:31]
	v_mul_f64 v[10:11], v[10:11], v[28:29]
	s_waitcnt lgkmcnt(5)
	v_mul_f64 v[58:59], v[6:7], v[34:35]
	v_mul_f64 v[6:7], v[6:7], v[32:33]
	s_waitcnt lgkmcnt(4)
	v_mul_f64 v[60:61], v[2:3], v[38:39]
	v_mul_f64 v[2:3], v[2:3], v[36:37]
	s_waitcnt lgkmcnt(3)
	v_mul_f64 v[62:63], v[14:15], v[42:43]
	v_mul_f64 v[14:15], v[14:15], v[40:41]
	s_waitcnt lgkmcnt(2)
	v_mul_f64 v[64:65], v[26:27], v[46:47]
	v_mul_f64 v[26:27], v[26:27], v[44:45]
	s_waitcnt lgkmcnt(1)
	v_mul_f64 v[66:67], v[22:23], v[50:51]
	v_mul_f64 v[22:23], v[22:23], v[48:49]
	s_waitcnt lgkmcnt(0)
	v_mul_f64 v[68:69], v[18:19], v[54:55]
	v_mul_f64 v[18:19], v[18:19], v[52:53]
	v_fma_f64 v[28:29], v[8:9], v[28:29], v[56:57]
	v_fma_f64 v[8:9], v[8:9], v[30:31], -v[10:11]
	v_fma_f64 v[10:11], v[4:5], v[32:33], v[58:59]
	v_fma_f64 v[4:5], v[4:5], v[34:35], -v[6:7]
	v_fma_f64 v[6:7], v[0:1], v[36:37], v[60:61]
	v_fma_f64 v[30:31], v[0:1], v[38:39], -v[2:3]
	v_fma_f64 v[32:33], v[12:13], v[40:41], v[62:63]
	v_fma_f64 v[12:13], v[12:13], v[42:43], -v[14:15]
	v_fma_f64 v[14:15], v[24:25], v[44:45], v[64:65]
	v_fma_f64 v[24:25], v[24:25], v[46:47], -v[26:27]
	v_fma_f64 v[26:27], v[20:21], v[48:49], v[66:67]
	v_fma_f64 v[20:21], v[20:21], v[50:51], -v[22:23]
	v_fma_f64 v[22:23], v[16:17], v[52:53], v[68:69]
	v_fma_f64 v[16:17], v[16:17], v[54:55], -v[18:19]
	ds_load_b128 v[0:3], v104
	s_waitcnt lgkmcnt(0)
	v_add_f64 v[6:7], v[0:1], -v[6:7]
	v_add_f64 v[18:19], v[2:3], -v[30:31]
	;; [unrolled: 1-line block ×8, first 2 shown]
	v_fma_f64 v[0:1], v[0:1], 2.0, -v[6:7]
	v_fma_f64 v[2:3], v[2:3], 2.0, -v[18:19]
	;; [unrolled: 1-line block ×6, first 2 shown]
	v_add_f64 v[32:33], v[6:7], v[12:13]
	v_add_f64 v[30:31], v[18:19], -v[30:31]
	v_fma_f64 v[12:13], v[26:27], 2.0, -v[22:23]
	v_fma_f64 v[20:21], v[20:21], 2.0, -v[16:17]
	v_add_f64 v[16:17], v[14:15], v[16:17]
	v_add_f64 v[22:23], v[24:25], -v[22:23]
	v_add_f64 v[26:27], v[0:1], -v[10:11]
	;; [unrolled: 1-line block ×3, first 2 shown]
	v_fma_f64 v[36:37], v[6:7], 2.0, -v[32:33]
	v_fma_f64 v[38:39], v[18:19], 2.0, -v[30:31]
	v_add_f64 v[4:5], v[28:29], -v[12:13]
	v_add_f64 v[6:7], v[8:9], -v[20:21]
	v_fma_f64 v[14:15], v[14:15], 2.0, -v[16:17]
	v_fma_f64 v[12:13], v[24:25], 2.0, -v[22:23]
	v_fma_f64 v[10:11], v[16:17], s[6:7], v[32:33]
	v_fma_f64 v[18:19], v[22:23], s[6:7], v[30:31]
	v_fma_f64 v[24:25], v[0:1], 2.0, -v[26:27]
	v_fma_f64 v[40:41], v[2:3], 2.0, -v[34:35]
	;; [unrolled: 1-line block ×4, first 2 shown]
	v_fma_f64 v[42:43], v[14:15], s[4:5], v[36:37]
	v_fma_f64 v[44:45], v[12:13], s[4:5], v[38:39]
	v_add_f64 v[0:1], v[26:27], v[6:7]
	v_add_f64 v[2:3], v[34:35], -v[4:5]
	v_fma_f64 v[4:5], v[22:23], s[6:7], v[10:11]
	v_fma_f64 v[6:7], v[16:17], s[4:5], v[18:19]
	v_add_f64 v[8:9], v[24:25], -v[20:21]
	v_add_f64 v[10:11], v[40:41], -v[28:29]
	v_fma_f64 v[12:13], v[12:13], s[6:7], v[42:43]
	v_fma_f64 v[14:15], v[14:15], s[4:5], v[44:45]
	v_fma_f64 v[16:17], v[26:27], 2.0, -v[0:1]
	v_fma_f64 v[18:19], v[34:35], 2.0, -v[2:3]
	;; [unrolled: 1-line block ×8, first 2 shown]
	ds_store_b128 v104, v[0:3] offset:1536
	ds_store_b128 v104, v[4:7] offset:1792
	;; [unrolled: 1-line block ×6, first 2 shown]
	ds_store_b128 v104, v[24:27]
	ds_store_b128 v104, v[28:31] offset:256
	s_waitcnt lgkmcnt(0)
	s_barrier
	buffer_gl0_inv
	s_and_b32 exec_lo, exec_lo, vcc_lo
	s_cbranch_execz .LBB0_15
; %bb.14:
	s_clause 0xf
	global_load_b128 v[0:3], v103, s[12:13]
	global_load_b128 v[4:7], v103, s[12:13] offset:128
	global_load_b128 v[8:11], v103, s[12:13] offset:256
	global_load_b128 v[12:15], v103, s[12:13] offset:384
	global_load_b128 v[16:19], v103, s[12:13] offset:512
	global_load_b128 v[20:23], v103, s[12:13] offset:640
	global_load_b128 v[24:27], v103, s[12:13] offset:768
	global_load_b128 v[28:31], v103, s[12:13] offset:896
	global_load_b128 v[32:35], v103, s[12:13] offset:1024
	global_load_b128 v[36:39], v103, s[12:13] offset:1152
	global_load_b128 v[40:43], v103, s[12:13] offset:1280
	global_load_b128 v[44:47], v103, s[12:13] offset:1408
	global_load_b128 v[48:51], v103, s[12:13] offset:1536
	global_load_b128 v[52:55], v103, s[12:13] offset:1664
	global_load_b128 v[56:59], v103, s[12:13] offset:1792
	global_load_b128 v[60:63], v103, s[12:13] offset:1920
	ds_load_b128 v[64:67], v104
	ds_load_b128 v[68:71], v102 offset:128
	ds_load_b128 v[72:75], v102 offset:256
	;; [unrolled: 1-line block ×8, first 2 shown]
	v_mad_u64_u32 v[139:140], null, s2, v92, 0
	v_mad_u64_u32 v[141:142], null, s0, v93, 0
	v_mad_u64_u32 v[143:144], null, s0, v94, 0
	v_mad_u64_u32 v[145:146], null, s0, v95, 0
	v_mad_u64_u32 v[147:148], null, s0, v96, 0
	v_mad_u64_u32 v[149:150], null, s0, v97, 0
	v_mad_u64_u32 v[151:152], null, s0, v98, 0
	v_mad_u64_u32 v[153:154], null, s0, v99, 0
	v_mad_u64_u32 v[155:156], null, s0, v100, 0
	v_mad_u64_u32 v[157:158], null, s0, v101, 0
	ds_load_b128 v[111:114], v102 offset:1152
	ds_load_b128 v[115:118], v102 offset:1280
	;; [unrolled: 1-line block ×7, first 2 shown]
	v_mov_b32_e32 v102, v140
	v_mov_b32_e32 v140, v142
	;; [unrolled: 1-line block ×10, first 2 shown]
	s_waitcnt lgkmcnt(8)
	v_mad_u64_u32 v[158:159], null, s3, v92, v[102:103]
	v_mad_u64_u32 v[159:160], null, s1, v93, v[140:141]
	;; [unrolled: 1-line block ×10, first 2 shown]
	v_mov_b32_e32 v140, v158
	v_mov_b32_e32 v142, v159
	;; [unrolled: 1-line block ×5, first 2 shown]
	v_lshlrev_b64 v[92:93], 4, v[139:140]
	v_mov_b32_e32 v154, v97
	v_mov_b32_e32 v156, v98
	v_mov_b32_e32 v158, v99
	v_mov_b32_e32 v148, v94
	v_mov_b32_e32 v150, v95
	v_lshlrev_b64 v[94:95], 4, v[141:142]
	v_lshlrev_b64 v[141:142], 4, v[151:152]
	;; [unrolled: 1-line block ×4, first 2 shown]
	v_add_co_u32 v185, vcc_lo, s8, v92
	v_lshlrev_b64 v[98:99], 4, v[145:146]
	v_lshlrev_b64 v[145:146], 4, v[155:156]
	v_add_co_ci_u32_e32 v186, vcc_lo, s9, v93, vcc_lo
	v_lshlrev_b64 v[92:93], 4, v[157:158]
	v_add_co_u32 v94, vcc_lo, v185, v94
	s_delay_alu instid0(VALU_DEP_3)
	v_add_co_ci_u32_e32 v95, vcc_lo, v186, v95, vcc_lo
	v_add_co_u32 v96, vcc_lo, v185, v96
	v_add_co_ci_u32_e32 v97, vcc_lo, v186, v97, vcc_lo
	v_lshlrev_b64 v[100:101], 4, v[147:148]
	v_add_co_u32 v98, vcc_lo, v185, v98
	s_lshl_b64 s[4:5], s[0:1], 8
	v_add_co_ci_u32_e32 v99, vcc_lo, v186, v99, vcc_lo
	v_add_co_u32 v147, vcc_lo, v94, s4
	v_add_co_ci_u32_e32 v148, vcc_lo, s5, v95, vcc_lo
	v_lshlrev_b64 v[139:140], 4, v[149:150]
	v_add_co_u32 v100, vcc_lo, v185, v100
	v_add_co_ci_u32_e32 v101, vcc_lo, v186, v101, vcc_lo
	v_add_co_u32 v149, vcc_lo, v147, s4
	v_add_co_ci_u32_e32 v150, vcc_lo, s5, v148, vcc_lo
	;; [unrolled: 2-line block ×3, first 2 shown]
	s_delay_alu instid0(VALU_DEP_4) | instskip(NEXT) | instid1(VALU_DEP_4)
	v_add_co_u32 v183, vcc_lo, v149, s4
	v_add_co_ci_u32_e32 v184, vcc_lo, s5, v150, vcc_lo
	s_waitcnt vmcnt(15)
	v_mul_f64 v[151:152], v[66:67], v[2:3]
	v_mul_f64 v[2:3], v[64:65], v[2:3]
	s_waitcnt vmcnt(14)
	v_mul_f64 v[153:154], v[70:71], v[6:7]
	v_mul_f64 v[6:7], v[68:69], v[6:7]
	;; [unrolled: 3-line block ×8, first 2 shown]
	s_waitcnt vmcnt(7) lgkmcnt(7)
	v_mul_f64 v[167:168], v[109:110], v[34:35]
	v_mul_f64 v[34:35], v[107:108], v[34:35]
	s_waitcnt vmcnt(6) lgkmcnt(6)
	v_mul_f64 v[169:170], v[113:114], v[38:39]
	v_mul_f64 v[38:39], v[111:112], v[38:39]
	;; [unrolled: 3-line block ×8, first 2 shown]
	v_fma_f64 v[64:65], v[64:65], v[0:1], v[151:152]
	v_fma_f64 v[2:3], v[0:1], v[66:67], -v[2:3]
	v_fma_f64 v[66:67], v[68:69], v[4:5], v[153:154]
	v_fma_f64 v[6:7], v[4:5], v[70:71], -v[6:7]
	;; [unrolled: 2-line block ×16, first 2 shown]
	v_add_co_u32 v106, vcc_lo, v185, v141
	v_add_co_ci_u32_e32 v107, vcc_lo, v186, v142, vcc_lo
	v_add_co_u32 v108, vcc_lo, v183, s4
	v_ldexp_f64 v[0:1], v[64:65], -7
	v_ldexp_f64 v[2:3], v[2:3], -7
	v_ldexp_f64 v[4:5], v[66:67], -7
	v_ldexp_f64 v[6:7], v[6:7], -7
	v_ldexp_f64 v[8:9], v[68:69], -7
	v_ldexp_f64 v[10:11], v[10:11], -7
	v_ldexp_f64 v[12:13], v[70:71], -7
	v_ldexp_f64 v[14:15], v[14:15], -7
	v_ldexp_f64 v[16:17], v[72:73], -7
	v_ldexp_f64 v[18:19], v[18:19], -7
	v_ldexp_f64 v[20:21], v[74:75], -7
	v_ldexp_f64 v[22:23], v[22:23], -7
	v_ldexp_f64 v[24:25], v[76:77], -7
	v_ldexp_f64 v[26:27], v[26:27], -7
	v_ldexp_f64 v[28:29], v[78:79], -7
	v_ldexp_f64 v[30:31], v[30:31], -7
	v_ldexp_f64 v[32:33], v[80:81], -7
	v_ldexp_f64 v[34:35], v[34:35], -7
	v_ldexp_f64 v[36:37], v[82:83], -7
	v_ldexp_f64 v[38:39], v[38:39], -7
	v_ldexp_f64 v[40:41], v[84:85], -7
	v_ldexp_f64 v[42:43], v[42:43], -7
	v_ldexp_f64 v[44:45], v[86:87], -7
	v_ldexp_f64 v[46:47], v[46:47], -7
	v_ldexp_f64 v[48:49], v[88:89], -7
	v_ldexp_f64 v[50:51], v[50:51], -7
	v_ldexp_f64 v[52:53], v[90:91], -7
	v_ldexp_f64 v[54:55], v[54:55], -7
	v_ldexp_f64 v[56:57], v[102:103], -7
	v_ldexp_f64 v[58:59], v[58:59], -7
	v_ldexp_f64 v[60:61], v[104:105], -7
	v_ldexp_f64 v[62:63], v[62:63], -7
	v_add_co_ci_u32_e32 v109, vcc_lo, s5, v184, vcc_lo
	v_add_co_u32 v64, vcc_lo, v185, v143
	v_add_co_ci_u32_e32 v65, vcc_lo, v186, v144, vcc_lo
	v_add_co_u32 v66, vcc_lo, v108, s4
	s_delay_alu instid0(VALU_DEP_4) | instskip(SKIP_2) | instid1(VALU_DEP_4)
	v_add_co_ci_u32_e32 v67, vcc_lo, s5, v109, vcc_lo
	v_add_co_u32 v68, vcc_lo, v185, v145
	v_add_co_ci_u32_e32 v69, vcc_lo, v186, v146, vcc_lo
	v_add_co_u32 v70, vcc_lo, v66, s4
	s_delay_alu instid0(VALU_DEP_4) | instskip(SKIP_2) | instid1(VALU_DEP_4)
	v_add_co_ci_u32_e32 v71, vcc_lo, s5, v67, vcc_lo
	v_add_co_u32 v72, vcc_lo, v185, v92
	v_add_co_ci_u32_e32 v73, vcc_lo, v186, v93, vcc_lo
	v_add_co_u32 v74, vcc_lo, v70, s4
	s_delay_alu instid0(VALU_DEP_4)
	v_add_co_ci_u32_e32 v75, vcc_lo, s5, v71, vcc_lo
	s_clause 0x9
	global_store_b128 v[94:95], v[0:3], off
	global_store_b128 v[96:97], v[4:7], off
	;; [unrolled: 1-line block ×16, first 2 shown]
.LBB0_15:
	s_nop 0
	s_sendmsg sendmsg(MSG_DEALLOC_VGPRS)
	s_endpgm
	.section	.rodata,"a",@progbits
	.p2align	6, 0x0
	.amdhsa_kernel bluestein_single_fwd_len128_dim1_dp_op_CI_CI
		.amdhsa_group_segment_fixed_size 32768
		.amdhsa_private_segment_fixed_size 0
		.amdhsa_kernarg_size 104
		.amdhsa_user_sgpr_count 15
		.amdhsa_user_sgpr_dispatch_ptr 0
		.amdhsa_user_sgpr_queue_ptr 0
		.amdhsa_user_sgpr_kernarg_segment_ptr 1
		.amdhsa_user_sgpr_dispatch_id 0
		.amdhsa_user_sgpr_private_segment_size 0
		.amdhsa_wavefront_size32 1
		.amdhsa_uses_dynamic_stack 0
		.amdhsa_enable_private_segment 0
		.amdhsa_system_sgpr_workgroup_id_x 1
		.amdhsa_system_sgpr_workgroup_id_y 0
		.amdhsa_system_sgpr_workgroup_id_z 0
		.amdhsa_system_sgpr_workgroup_info 0
		.amdhsa_system_vgpr_workitem_id 0
		.amdhsa_next_free_vgpr 187
		.amdhsa_next_free_sgpr 22
		.amdhsa_reserve_vcc 1
		.amdhsa_float_round_mode_32 0
		.amdhsa_float_round_mode_16_64 0
		.amdhsa_float_denorm_mode_32 3
		.amdhsa_float_denorm_mode_16_64 3
		.amdhsa_dx10_clamp 1
		.amdhsa_ieee_mode 1
		.amdhsa_fp16_overflow 0
		.amdhsa_workgroup_processor_mode 1
		.amdhsa_memory_ordered 1
		.amdhsa_forward_progress 0
		.amdhsa_shared_vgpr_count 0
		.amdhsa_exception_fp_ieee_invalid_op 0
		.amdhsa_exception_fp_denorm_src 0
		.amdhsa_exception_fp_ieee_div_zero 0
		.amdhsa_exception_fp_ieee_overflow 0
		.amdhsa_exception_fp_ieee_underflow 0
		.amdhsa_exception_fp_ieee_inexact 0
		.amdhsa_exception_int_div_zero 0
	.end_amdhsa_kernel
	.text
.Lfunc_end0:
	.size	bluestein_single_fwd_len128_dim1_dp_op_CI_CI, .Lfunc_end0-bluestein_single_fwd_len128_dim1_dp_op_CI_CI
                                        ; -- End function
	.section	.AMDGPU.csdata,"",@progbits
; Kernel info:
; codeLenInByte = 9644
; NumSgprs: 24
; NumVgprs: 187
; ScratchSize: 0
; MemoryBound: 0
; FloatMode: 240
; IeeeMode: 1
; LDSByteSize: 32768 bytes/workgroup (compile time only)
; SGPRBlocks: 2
; VGPRBlocks: 23
; NumSGPRsForWavesPerEU: 24
; NumVGPRsForWavesPerEU: 187
; Occupancy: 8
; WaveLimiterHint : 1
; COMPUTE_PGM_RSRC2:SCRATCH_EN: 0
; COMPUTE_PGM_RSRC2:USER_SGPR: 15
; COMPUTE_PGM_RSRC2:TRAP_HANDLER: 0
; COMPUTE_PGM_RSRC2:TGID_X_EN: 1
; COMPUTE_PGM_RSRC2:TGID_Y_EN: 0
; COMPUTE_PGM_RSRC2:TGID_Z_EN: 0
; COMPUTE_PGM_RSRC2:TIDIG_COMP_CNT: 0
	.text
	.p2alignl 7, 3214868480
	.fill 96, 4, 3214868480
	.type	__hip_cuid_7dea85522cf0e621,@object ; @__hip_cuid_7dea85522cf0e621
	.section	.bss,"aw",@nobits
	.globl	__hip_cuid_7dea85522cf0e621
__hip_cuid_7dea85522cf0e621:
	.byte	0                               ; 0x0
	.size	__hip_cuid_7dea85522cf0e621, 1

	.ident	"AMD clang version 19.0.0git (https://github.com/RadeonOpenCompute/llvm-project roc-6.4.0 25133 c7fe45cf4b819c5991fe208aaa96edf142730f1d)"
	.section	".note.GNU-stack","",@progbits
	.addrsig
	.addrsig_sym __hip_cuid_7dea85522cf0e621
	.amdgpu_metadata
---
amdhsa.kernels:
  - .args:
      - .actual_access:  read_only
        .address_space:  global
        .offset:         0
        .size:           8
        .value_kind:     global_buffer
      - .actual_access:  read_only
        .address_space:  global
        .offset:         8
        .size:           8
        .value_kind:     global_buffer
      - .actual_access:  read_only
        .address_space:  global
        .offset:         16
        .size:           8
        .value_kind:     global_buffer
      - .actual_access:  read_only
        .address_space:  global
        .offset:         24
        .size:           8
        .value_kind:     global_buffer
      - .actual_access:  read_only
        .address_space:  global
        .offset:         32
        .size:           8
        .value_kind:     global_buffer
      - .offset:         40
        .size:           8
        .value_kind:     by_value
      - .address_space:  global
        .offset:         48
        .size:           8
        .value_kind:     global_buffer
      - .address_space:  global
        .offset:         56
        .size:           8
        .value_kind:     global_buffer
      - .address_space:  global
        .offset:         64
        .size:           8
        .value_kind:     global_buffer
      - .address_space:  global
        .offset:         72
        .size:           8
        .value_kind:     global_buffer
      - .offset:         80
        .size:           4
        .value_kind:     by_value
      - .address_space:  global
        .offset:         88
        .size:           8
        .value_kind:     global_buffer
      - .address_space:  global
        .offset:         96
        .size:           8
        .value_kind:     global_buffer
    .group_segment_fixed_size: 32768
    .kernarg_segment_align: 8
    .kernarg_segment_size: 104
    .language:       OpenCL C
    .language_version:
      - 2
      - 0
    .max_flat_workgroup_size: 256
    .name:           bluestein_single_fwd_len128_dim1_dp_op_CI_CI
    .private_segment_fixed_size: 0
    .sgpr_count:     24
    .sgpr_spill_count: 0
    .symbol:         bluestein_single_fwd_len128_dim1_dp_op_CI_CI.kd
    .uniform_work_group_size: 1
    .uses_dynamic_stack: false
    .vgpr_count:     187
    .vgpr_spill_count: 0
    .wavefront_size: 32
    .workgroup_processor_mode: 1
amdhsa.target:   amdgcn-amd-amdhsa--gfx1100
amdhsa.version:
  - 1
  - 2
...

	.end_amdgpu_metadata
